;; amdgpu-corpus repo=ROCm/rocFFT kind=compiled arch=gfx906 opt=O3
	.text
	.amdgcn_target "amdgcn-amd-amdhsa--gfx906"
	.amdhsa_code_object_version 6
	.protected	fft_rtc_fwd_len900_factors_10_10_3_3_wgs_180_tpt_90_halfLds_sp_op_CI_CI_unitstride_sbrr_dirReg ; -- Begin function fft_rtc_fwd_len900_factors_10_10_3_3_wgs_180_tpt_90_halfLds_sp_op_CI_CI_unitstride_sbrr_dirReg
	.globl	fft_rtc_fwd_len900_factors_10_10_3_3_wgs_180_tpt_90_halfLds_sp_op_CI_CI_unitstride_sbrr_dirReg
	.p2align	8
	.type	fft_rtc_fwd_len900_factors_10_10_3_3_wgs_180_tpt_90_halfLds_sp_op_CI_CI_unitstride_sbrr_dirReg,@function
fft_rtc_fwd_len900_factors_10_10_3_3_wgs_180_tpt_90_halfLds_sp_op_CI_CI_unitstride_sbrr_dirReg: ; @fft_rtc_fwd_len900_factors_10_10_3_3_wgs_180_tpt_90_halfLds_sp_op_CI_CI_unitstride_sbrr_dirReg
; %bb.0:
	s_load_dwordx4 s[12:15], s[4:5], 0x58
	s_load_dwordx4 s[8:11], s[4:5], 0x0
	;; [unrolled: 1-line block ×3, first 2 shown]
	v_mul_u32_u24_e32 v1, 0x2d9, v0
	v_lshrrev_b32_e32 v26, 16, v1
	v_mov_b32_e32 v5, 0
	s_waitcnt lgkmcnt(0)
	v_cmp_lt_u64_e64 s[0:1], s[10:11], 2
	v_mov_b32_e32 v13, 0
	v_lshl_add_u32 v7, s6, 1, v26
	v_mov_b32_e32 v8, v5
	s_and_b64 vcc, exec, s[0:1]
	v_mov_b32_e32 v14, 0
	s_cbranch_vccnz .LBB0_8
; %bb.1:
	s_load_dwordx2 s[0:1], s[4:5], 0x10
	s_add_u32 s2, s18, 8
	s_addc_u32 s3, s19, 0
	s_add_u32 s6, s16, 8
	s_addc_u32 s7, s17, 0
	v_mov_b32_e32 v13, 0
	s_waitcnt lgkmcnt(0)
	s_add_u32 s20, s0, 8
	v_mov_b32_e32 v14, 0
	v_mov_b32_e32 v1, v13
	s_addc_u32 s21, s1, 0
	s_mov_b64 s[22:23], 1
	v_mov_b32_e32 v2, v14
.LBB0_2:                                ; =>This Inner Loop Header: Depth=1
	s_load_dwordx2 s[24:25], s[20:21], 0x0
                                        ; implicit-def: $vgpr3_vgpr4
	s_waitcnt lgkmcnt(0)
	v_or_b32_e32 v6, s25, v8
	v_cmp_ne_u64_e32 vcc, 0, v[5:6]
	s_and_saveexec_b64 s[0:1], vcc
	s_xor_b64 s[26:27], exec, s[0:1]
	s_cbranch_execz .LBB0_4
; %bb.3:                                ;   in Loop: Header=BB0_2 Depth=1
	v_cvt_f32_u32_e32 v3, s24
	v_cvt_f32_u32_e32 v4, s25
	s_sub_u32 s0, 0, s24
	s_subb_u32 s1, 0, s25
	v_mac_f32_e32 v3, 0x4f800000, v4
	v_rcp_f32_e32 v3, v3
	v_mul_f32_e32 v3, 0x5f7ffffc, v3
	v_mul_f32_e32 v4, 0x2f800000, v3
	v_trunc_f32_e32 v4, v4
	v_mac_f32_e32 v3, 0xcf800000, v4
	v_cvt_u32_f32_e32 v4, v4
	v_cvt_u32_f32_e32 v3, v3
	v_mul_lo_u32 v6, s0, v4
	v_mul_hi_u32 v9, s0, v3
	v_mul_lo_u32 v11, s1, v3
	v_mul_lo_u32 v10, s0, v3
	v_add_u32_e32 v6, v9, v6
	v_add_u32_e32 v6, v6, v11
	v_mul_hi_u32 v9, v3, v10
	v_mul_lo_u32 v11, v3, v6
	v_mul_hi_u32 v15, v3, v6
	v_mul_hi_u32 v12, v4, v10
	v_mul_lo_u32 v10, v4, v10
	v_mul_hi_u32 v16, v4, v6
	v_add_co_u32_e32 v9, vcc, v9, v11
	v_addc_co_u32_e32 v11, vcc, 0, v15, vcc
	v_mul_lo_u32 v6, v4, v6
	v_add_co_u32_e32 v9, vcc, v9, v10
	v_addc_co_u32_e32 v9, vcc, v11, v12, vcc
	v_addc_co_u32_e32 v10, vcc, 0, v16, vcc
	v_add_co_u32_e32 v6, vcc, v9, v6
	v_addc_co_u32_e32 v9, vcc, 0, v10, vcc
	v_add_co_u32_e32 v3, vcc, v3, v6
	v_addc_co_u32_e32 v4, vcc, v4, v9, vcc
	v_mul_lo_u32 v6, s0, v4
	v_mul_hi_u32 v9, s0, v3
	v_mul_lo_u32 v10, s1, v3
	v_mul_lo_u32 v11, s0, v3
	v_add_u32_e32 v6, v9, v6
	v_add_u32_e32 v6, v6, v10
	v_mul_lo_u32 v12, v3, v6
	v_mul_hi_u32 v15, v3, v11
	v_mul_hi_u32 v16, v3, v6
	;; [unrolled: 1-line block ×3, first 2 shown]
	v_mul_lo_u32 v11, v4, v11
	v_mul_hi_u32 v9, v4, v6
	v_add_co_u32_e32 v12, vcc, v15, v12
	v_addc_co_u32_e32 v15, vcc, 0, v16, vcc
	v_mul_lo_u32 v6, v4, v6
	v_add_co_u32_e32 v11, vcc, v12, v11
	v_addc_co_u32_e32 v10, vcc, v15, v10, vcc
	v_addc_co_u32_e32 v9, vcc, 0, v9, vcc
	v_add_co_u32_e32 v6, vcc, v10, v6
	v_addc_co_u32_e32 v9, vcc, 0, v9, vcc
	v_add_co_u32_e32 v6, vcc, v3, v6
	v_addc_co_u32_e32 v9, vcc, v4, v9, vcc
	v_mad_u64_u32 v[3:4], s[0:1], v7, v9, 0
	v_mul_hi_u32 v10, v7, v6
	v_add_co_u32_e32 v11, vcc, v10, v3
	v_addc_co_u32_e32 v12, vcc, 0, v4, vcc
	v_mad_u64_u32 v[3:4], s[0:1], v8, v6, 0
	v_mad_u64_u32 v[9:10], s[0:1], v8, v9, 0
	v_add_co_u32_e32 v3, vcc, v11, v3
	v_addc_co_u32_e32 v3, vcc, v12, v4, vcc
	v_addc_co_u32_e32 v4, vcc, 0, v10, vcc
	v_add_co_u32_e32 v6, vcc, v3, v9
	v_addc_co_u32_e32 v9, vcc, 0, v4, vcc
	v_mul_lo_u32 v10, s25, v6
	v_mul_lo_u32 v11, s24, v9
	v_mad_u64_u32 v[3:4], s[0:1], s24, v6, 0
	v_add3_u32 v4, v4, v11, v10
	v_sub_u32_e32 v10, v8, v4
	v_mov_b32_e32 v11, s25
	v_sub_co_u32_e32 v3, vcc, v7, v3
	v_subb_co_u32_e64 v10, s[0:1], v10, v11, vcc
	v_subrev_co_u32_e64 v11, s[0:1], s24, v3
	v_subbrev_co_u32_e64 v10, s[0:1], 0, v10, s[0:1]
	v_cmp_le_u32_e64 s[0:1], s25, v10
	v_cndmask_b32_e64 v12, 0, -1, s[0:1]
	v_cmp_le_u32_e64 s[0:1], s24, v11
	v_cndmask_b32_e64 v11, 0, -1, s[0:1]
	v_cmp_eq_u32_e64 s[0:1], s25, v10
	v_cndmask_b32_e64 v10, v12, v11, s[0:1]
	v_add_co_u32_e64 v11, s[0:1], 2, v6
	v_addc_co_u32_e64 v12, s[0:1], 0, v9, s[0:1]
	v_add_co_u32_e64 v15, s[0:1], 1, v6
	v_addc_co_u32_e64 v16, s[0:1], 0, v9, s[0:1]
	v_subb_co_u32_e32 v4, vcc, v8, v4, vcc
	v_cmp_ne_u32_e64 s[0:1], 0, v10
	v_cmp_le_u32_e32 vcc, s25, v4
	v_cndmask_b32_e64 v10, v16, v12, s[0:1]
	v_cndmask_b32_e64 v12, 0, -1, vcc
	v_cmp_le_u32_e32 vcc, s24, v3
	v_cndmask_b32_e64 v3, 0, -1, vcc
	v_cmp_eq_u32_e32 vcc, s25, v4
	v_cndmask_b32_e32 v3, v12, v3, vcc
	v_cmp_ne_u32_e32 vcc, 0, v3
	v_cndmask_b32_e64 v3, v15, v11, s[0:1]
	v_cndmask_b32_e32 v4, v9, v10, vcc
	v_cndmask_b32_e32 v3, v6, v3, vcc
.LBB0_4:                                ;   in Loop: Header=BB0_2 Depth=1
	s_andn2_saveexec_b64 s[0:1], s[26:27]
	s_cbranch_execz .LBB0_6
; %bb.5:                                ;   in Loop: Header=BB0_2 Depth=1
	v_cvt_f32_u32_e32 v3, s24
	s_sub_i32 s26, 0, s24
	v_rcp_iflag_f32_e32 v3, v3
	v_mul_f32_e32 v3, 0x4f7ffffe, v3
	v_cvt_u32_f32_e32 v3, v3
	v_mul_lo_u32 v4, s26, v3
	v_mul_hi_u32 v4, v3, v4
	v_add_u32_e32 v3, v3, v4
	v_mul_hi_u32 v3, v7, v3
	v_mul_lo_u32 v4, v3, s24
	v_add_u32_e32 v6, 1, v3
	v_sub_u32_e32 v4, v7, v4
	v_subrev_u32_e32 v9, s24, v4
	v_cmp_le_u32_e32 vcc, s24, v4
	v_cndmask_b32_e32 v4, v4, v9, vcc
	v_cndmask_b32_e32 v3, v3, v6, vcc
	v_add_u32_e32 v6, 1, v3
	v_cmp_le_u32_e32 vcc, s24, v4
	v_cndmask_b32_e32 v3, v3, v6, vcc
	v_mov_b32_e32 v4, v5
.LBB0_6:                                ;   in Loop: Header=BB0_2 Depth=1
	s_or_b64 exec, exec, s[0:1]
	v_mul_lo_u32 v6, v4, s24
	v_mul_lo_u32 v11, v3, s25
	v_mad_u64_u32 v[9:10], s[0:1], v3, s24, 0
	s_load_dwordx2 s[0:1], s[6:7], 0x0
	s_load_dwordx2 s[24:25], s[2:3], 0x0
	v_add3_u32 v6, v10, v11, v6
	v_sub_co_u32_e32 v7, vcc, v7, v9
	v_subb_co_u32_e32 v6, vcc, v8, v6, vcc
	s_waitcnt lgkmcnt(0)
	v_mul_lo_u32 v8, s0, v6
	v_mul_lo_u32 v9, s1, v7
	v_mad_u64_u32 v[13:14], s[0:1], s0, v7, v[13:14]
	v_mul_lo_u32 v6, s24, v6
	v_mul_lo_u32 v10, s25, v7
	v_mad_u64_u32 v[1:2], s[0:1], s24, v7, v[1:2]
	s_add_u32 s22, s22, 1
	s_addc_u32 s23, s23, 0
	s_add_u32 s2, s2, 8
	v_add3_u32 v2, v10, v2, v6
	s_addc_u32 s3, s3, 0
	v_mov_b32_e32 v6, s10
	s_add_u32 s6, s6, 8
	v_mov_b32_e32 v7, s11
	s_addc_u32 s7, s7, 0
	v_cmp_ge_u64_e32 vcc, s[22:23], v[6:7]
	s_add_u32 s20, s20, 8
	v_add3_u32 v14, v9, v14, v8
	s_addc_u32 s21, s21, 0
	s_cbranch_vccnz .LBB0_9
; %bb.7:                                ;   in Loop: Header=BB0_2 Depth=1
	v_mov_b32_e32 v8, v4
	v_mov_b32_e32 v7, v3
	s_branch .LBB0_2
.LBB0_8:
	v_mov_b32_e32 v1, v13
	v_mov_b32_e32 v3, v7
	;; [unrolled: 1-line block ×4, first 2 shown]
.LBB0_9:
	s_load_dwordx2 s[4:5], s[4:5], 0x28
	s_lshl_b64 s[6:7], s[10:11], 3
	s_add_u32 s2, s18, s6
	s_addc_u32 s3, s19, s7
                                        ; implicit-def: $vgpr27
	s_waitcnt lgkmcnt(0)
	v_cmp_gt_u64_e64 s[0:1], s[4:5], v[3:4]
	v_cmp_le_u64_e32 vcc, s[4:5], v[3:4]
	s_and_saveexec_b64 s[4:5], vcc
	s_xor_b64 s[4:5], exec, s[4:5]
; %bb.10:
	s_mov_b32 s10, 0x2d82d83
	v_mul_hi_u32 v5, v0, s10
                                        ; implicit-def: $vgpr13_vgpr14
	v_mul_u32_u24_e32 v5, 0x5a, v5
	v_sub_u32_e32 v27, v0, v5
                                        ; implicit-def: $vgpr0
; %bb.11:
	s_or_saveexec_b64 s[4:5], s[4:5]
                                        ; implicit-def: $vgpr19
                                        ; implicit-def: $vgpr23
                                        ; implicit-def: $vgpr15
                                        ; implicit-def: $vgpr17
                                        ; implicit-def: $vgpr12
                                        ; implicit-def: $vgpr21
                                        ; implicit-def: $vgpr25
                                        ; implicit-def: $vgpr10
                                        ; implicit-def: $vgpr8
                                        ; implicit-def: $vgpr6
	s_xor_b64 exec, exec, s[4:5]
	s_cbranch_execz .LBB0_13
; %bb.12:
	s_add_u32 s6, s16, s6
	s_addc_u32 s7, s17, s7
	s_load_dwordx2 s[6:7], s[6:7], 0x0
	s_mov_b32 s10, 0x2d82d83
	v_mul_hi_u32 v7, v0, s10
	s_waitcnt lgkmcnt(0)
	v_mul_lo_u32 v8, s7, v3
	v_mul_lo_u32 v9, s6, v4
	v_mad_u64_u32 v[5:6], s[6:7], s6, v3, 0
	v_mul_u32_u24_e32 v7, 0x5a, v7
	v_sub_u32_e32 v27, v0, v7
	v_add3_u32 v6, v6, v9, v8
	v_lshlrev_b64 v[5:6], 3, v[5:6]
	v_mov_b32_e32 v0, s13
	v_add_co_u32_e32 v7, vcc, s12, v5
	v_addc_co_u32_e32 v0, vcc, v0, v6, vcc
	v_lshlrev_b64 v[5:6], 3, v[13:14]
	s_movk_i32 s6, 0x1000
	v_add_co_u32_e32 v5, vcc, v7, v5
	v_addc_co_u32_e32 v0, vcc, v0, v6, vcc
	v_lshlrev_b32_e32 v6, 3, v27
	v_add_co_u32_e32 v28, vcc, v5, v6
	v_addc_co_u32_e32 v29, vcc, 0, v0, vcc
	v_add_co_u32_e32 v30, vcc, s6, v28
	global_load_dwordx2 v[5:6], v[28:29], off
	global_load_dwordx2 v[7:8], v[28:29], off offset:720
	global_load_dwordx2 v[9:10], v[28:29], off offset:1440
	;; [unrolled: 1-line block ×3, first 2 shown]
	v_addc_co_u32_e32 v31, vcc, 0, v29, vcc
	global_load_dwordx2 v[20:21], v[28:29], off offset:2880
	global_load_dwordx2 v[11:12], v[28:29], off offset:3600
	;; [unrolled: 1-line block ×6, first 2 shown]
.LBB0_13:
	s_or_b64 exec, exec, s[4:5]
	s_waitcnt vmcnt(5)
	v_sub_f32_e32 v0, v9, v20
	s_waitcnt vmcnt(1)
	v_sub_f32_e32 v13, v22, v16
	v_add_f32_e32 v28, v13, v0
	v_add_f32_e32 v0, v16, v20
	;; [unrolled: 1-line block ×3, first 2 shown]
	v_fma_f32 v29, -0.5, v0, v5
	v_add_f32_e32 v0, v9, v5
	v_fmac_f32_e32 v5, -0.5, v13
	v_sub_f32_e32 v13, v20, v9
	v_sub_f32_e32 v30, v16, v22
	v_add_f32_e32 v13, v30, v13
	v_sub_f32_e32 v30, v21, v17
	v_mov_b32_e32 v31, v5
	v_fmac_f32_e32 v31, 0xbf737871, v30
	v_sub_f32_e32 v32, v10, v23
	v_fmac_f32_e32 v5, 0x3f737871, v30
	v_fmac_f32_e32 v31, 0x3f167918, v32
	;; [unrolled: 1-line block ×5, first 2 shown]
	v_sub_f32_e32 v13, v24, v11
	s_waitcnt vmcnt(0)
	v_sub_f32_e32 v33, v18, v14
	v_add_f32_e32 v33, v33, v13
	v_add_f32_e32 v13, v14, v11
	;; [unrolled: 1-line block ×3, first 2 shown]
	v_fma_f32 v34, -0.5, v13, v7
	v_add_f32_e32 v13, v24, v7
	v_fmac_f32_e32 v7, -0.5, v35
	v_sub_f32_e32 v35, v11, v24
	v_sub_f32_e32 v36, v14, v18
	v_add_f32_e32 v35, v36, v35
	v_sub_f32_e32 v36, v12, v15
	v_mov_b32_e32 v37, v7
	v_fmac_f32_e32 v37, 0xbf737871, v36
	v_sub_f32_e32 v38, v25, v19
	v_fmac_f32_e32 v7, 0x3f737871, v36
	v_fmac_f32_e32 v37, 0x3f167918, v38
	;; [unrolled: 1-line block ×5, first 2 shown]
	v_sub_f32_e32 v35, v25, v12
	v_sub_f32_e32 v39, v19, v15
	v_add_f32_e32 v35, v39, v35
	v_add_f32_e32 v39, v15, v12
	;; [unrolled: 1-line block ×4, first 2 shown]
	v_fma_f32 v43, -0.5, v39, v8
	v_add_f32_e32 v39, v25, v8
	v_fmac_f32_e32 v8, -0.5, v40
	v_add_f32_e32 v0, v16, v0
	v_sub_f32_e32 v41, v11, v14
	v_mov_b32_e32 v42, v8
	v_add_f32_e32 v44, v22, v0
	v_add_f32_e32 v0, v11, v13
	v_sub_f32_e32 v40, v24, v18
	v_sub_f32_e32 v24, v12, v25
	v_sub_f32_e32 v25, v15, v19
	v_fmac_f32_e32 v42, 0x3f737871, v41
	v_fmac_f32_e32 v8, 0xbf737871, v41
	v_add_f32_e32 v0, v14, v0
	v_add_f32_e32 v24, v25, v24
	v_fmac_f32_e32 v42, 0xbf167918, v40
	v_fmac_f32_e32 v8, 0x3f167918, v40
	v_add_f32_e32 v11, v18, v0
	v_mov_b32_e32 v18, v34
	v_fmac_f32_e32 v42, 0x3e9e377a, v24
	v_fmac_f32_e32 v8, 0x3e9e377a, v24
	v_and_b32_e32 v24, 1, v26
	v_fmac_f32_e32 v18, 0x3f737871, v38
	v_mov_b32_e32 v46, v43
	v_mov_b32_e32 v25, 0x384
	v_cmp_eq_u32_e32 vcc, 1, v24
	v_mov_b32_e32 v45, v29
	v_fmac_f32_e32 v18, 0x3f167918, v36
	v_fmac_f32_e32 v46, 0xbf737871, v40
	v_cndmask_b32_e32 v26, 0, v25, vcc
	s_mov_b32 s7, 0x3f737871
	v_fmac_f32_e32 v45, 0x3f737871, v32
	v_fmac_f32_e32 v18, 0x3e9e377a, v33
	;; [unrolled: 1-line block ×3, first 2 shown]
	v_mul_f32_e32 v0, 0x3e9e377a, v7
	v_fmac_f32_e32 v45, 0x3f167918, v30
	v_fmac_f32_e32 v46, 0x3e9e377a, v35
	v_mul_f32_e32 v47, 0x3f4f1bbd, v18
	v_mul_f32_e32 v48, 0x3e9e377a, v37
	v_fma_f32 v49, v8, s7, -v0
	v_lshlrev_b32_e32 v0, 2, v26
	v_fmac_f32_e32 v34, 0xbf737871, v38
	v_fmac_f32_e32 v45, 0x3e9e377a, v28
	;; [unrolled: 1-line block ×4, first 2 shown]
	v_mul_u32_u24_e32 v26, 10, v27
	v_add_u32_e32 v50, 0, v0
	v_fmac_f32_e32 v34, 0xbf167918, v36
	v_fmac_f32_e32 v43, 0x3f737871, v40
	v_add_f32_e32 v13, v11, v44
	v_add_f32_e32 v14, v45, v47
	;; [unrolled: 1-line block ×4, first 2 shown]
	v_lshl_add_u32 v26, v26, 2, v50
	v_fmac_f32_e32 v29, 0xbf737871, v32
	v_fmac_f32_e32 v34, 0x3e9e377a, v33
	;; [unrolled: 1-line block ×3, first 2 shown]
	ds_write2_b64 v26, v[13:14], v[24:25] offset1:1
	v_fmac_f32_e32 v29, 0xbf167918, v30
	v_fmac_f32_e32 v43, 0x3e9e377a, v35
	s_mov_b32 s11, 0x3f167918
	v_mul_f32_e32 v24, 0x3f4f1bbd, v34
	v_fmac_f32_e32 v29, 0x3e9e377a, v28
	v_fma_f32 v28, v43, s11, -v24
	v_sub_f32_e32 v13, v45, v47
	v_sub_f32_e32 v14, v31, v48
	;; [unrolled: 1-line block ×3, first 2 shown]
	v_add_f32_e32 v24, v29, v28
	v_add_f32_e32 v11, v10, v6
	ds_write2_b64 v26, v[24:25], v[13:14] offset0:2 offset1:3
	v_add_f32_e32 v11, v21, v11
	v_add_f32_e32 v13, v17, v21
	v_sub_f32_e32 v14, v20, v16
	v_sub_f32_e32 v16, v10, v21
	;; [unrolled: 1-line block ×4, first 2 shown]
	v_add_f32_e32 v9, v23, v10
	v_add_f32_e32 v10, v17, v11
	v_sub_f32_e32 v11, v23, v17
	v_sub_f32_e32 v17, v17, v23
	v_fma_f32 v13, -0.5, v13, v6
	v_fmac_f32_e32 v6, -0.5, v9
	v_add_f32_e32 v9, v17, v20
	v_mov_b32_e32 v17, v6
	v_mov_b32_e32 v20, v13
	v_add_f32_e32 v22, v23, v10
	v_add_f32_e32 v10, v12, v39
	v_fmac_f32_e32 v17, 0x3f737871, v14
	v_fmac_f32_e32 v6, 0xbf737871, v14
	;; [unrolled: 1-line block ×3, first 2 shown]
	v_add_f32_e32 v10, v15, v10
	v_add_f32_e32 v24, v11, v16
	v_fmac_f32_e32 v17, 0xbf167918, v21
	v_fmac_f32_e32 v6, 0x3f167918, v21
	s_mov_b32 s6, 0xbf737871
	v_mul_f32_e32 v18, 0xbf167918, v18
	v_fmac_f32_e32 v20, 0xbf167918, v14
	v_mul_f32_e32 v25, 0xbf737871, v37
	v_mul_f32_e32 v8, 0x3e9e377a, v8
	v_fmac_f32_e32 v13, 0x3f737871, v21
	v_add_f32_e32 v19, v19, v10
	v_fmac_f32_e32 v17, 0x3e9e377a, v9
	v_fmac_f32_e32 v6, 0x3e9e377a, v9
	s_load_dwordx2 s[4:5], s[2:3], 0x0
	v_fmac_f32_e32 v18, 0x3f4f1bbd, v46
	v_fmac_f32_e32 v20, 0x3e9e377a, v24
	v_fmac_f32_e32 v25, 0x3e9e377a, v42
	v_fma_f32 v31, v7, s6, -v8
	v_sub_f32_e32 v7, v5, v49
	s_movk_i32 s2, 0xffdc
	v_fmac_f32_e32 v13, 0x3f167918, v14
	s_mov_b32 s10, 0xbf167918
	v_mul_f32_e32 v5, 0x3f4f1bbd, v43
	v_add_f32_e32 v9, v19, v22
	v_add_f32_e32 v10, v20, v18
	v_sub_f32_e32 v8, v29, v28
	v_add_f32_e32 v11, v17, v25
	v_add_f32_e32 v12, v6, v31
	v_lshl_add_u32 v23, v27, 2, v50
	v_mad_i32_i24 v28, v27, s2, v26
	v_fmac_f32_e32 v13, 0x3e9e377a, v24
	v_fma_f32 v14, v34, s10, -v5
	ds_write_b64 v26, v[7:8] offset:32
	s_waitcnt lgkmcnt(0)
	s_barrier
	v_add_u32_e32 v7, 0x400, v28
	v_add_u32_e32 v8, 0x600, v28
	;; [unrolled: 1-line block ×3, first 2 shown]
	ds_read_b32 v46, v23
	ds_read_b32 v47, v28 offset:3240
	ds_read2_b32 v[15:16], v28 offset0:90 offset1:180
	ds_read2_b32 v[29:30], v7 offset0:14 offset1:104
	;; [unrolled: 1-line block ×4, first 2 shown]
	s_waitcnt lgkmcnt(0)
	s_barrier
	ds_write2_b64 v26, v[9:10], v[11:12] offset1:1
	v_sub_f32_e32 v9, v20, v18
	v_sub_f32_e32 v10, v17, v25
	;; [unrolled: 1-line block ×4, first 2 shown]
	v_add_f32_e32 v11, v13, v14
	s_movk_i32 s2, 0xcd
	v_sub_f32_e32 v6, v13, v14
	ds_write2_b64 v26, v[11:12], v[9:10] offset0:2 offset1:3
	ds_write_b64 v26, v[5:6] offset:32
	v_mul_lo_u16_sdwa v5, v27, s2 dst_sel:DWORD dst_unused:UNUSED_PAD src0_sel:BYTE_0 src1_sel:DWORD
	v_lshrrev_b16_e32 v48, 11, v5
	v_mul_lo_u16_e32 v5, 10, v48
	v_sub_u16_e32 v49, v27, v5
	v_mov_b32_e32 v5, 9
	v_mul_u32_u24_sdwa v5, v49, v5 dst_sel:DWORD dst_unused:UNUSED_PAD src0_sel:BYTE_0 src1_sel:DWORD
	v_lshlrev_b32_e32 v9, 3, v5
	s_waitcnt lgkmcnt(0)
	s_barrier
	global_load_dwordx4 v[11:14], v9, s[8:9]
	global_load_dwordx4 v[19:22], v9, s[8:9] offset:16
	global_load_dwordx4 v[31:34], v9, s[8:9] offset:32
	;; [unrolled: 1-line block ×3, first 2 shown]
	global_load_dwordx2 v[5:6], v9, s[8:9] offset:64
	ds_read2_b32 v[25:26], v28 offset0:90 offset1:180
	ds_read2_b32 v[43:44], v7 offset0:14 offset1:104
	s_movk_i32 s2, 0x190
	v_cmp_gt_u32_e32 vcc, 30, v27
	s_waitcnt vmcnt(4) lgkmcnt(1)
	v_mul_f32_e32 v10, v26, v14
	v_mul_f32_e32 v9, v25, v12
	v_fma_f32 v24, v16, v13, -v10
	v_mul_f32_e32 v10, v15, v12
	v_fma_f32 v9, v15, v11, -v9
	v_fmac_f32_e32 v10, v25, v11
	s_waitcnt vmcnt(3) lgkmcnt(0)
	v_mul_f32_e32 v11, v43, v20
	v_fma_f32 v15, v29, v19, -v11
	v_mul_f32_e32 v11, v44, v22
	v_fma_f32 v25, v30, v21, -v11
	ds_read2_b32 v[11:12], v8 offset0:66 offset1:156
	v_mul_f32_e32 v18, v16, v14
	v_fmac_f32_e32 v18, v26, v13
	v_mul_f32_e32 v17, v29, v20
	v_mul_f32_e32 v20, v30, v22
	s_waitcnt vmcnt(2) lgkmcnt(0)
	v_mul_f32_e32 v13, v11, v32
	v_fma_f32 v16, v39, v31, -v13
	v_mul_f32_e32 v13, v12, v34
	v_fma_f32 v30, v40, v33, -v13
	ds_read2_b32 v[13:14], v45 offset0:118 offset1:208
	v_mul_f32_e32 v22, v40, v34
	v_fmac_f32_e32 v17, v43, v19
	v_mul_f32_e32 v19, v39, v32
	v_fmac_f32_e32 v22, v12, v33
	s_waitcnt vmcnt(1) lgkmcnt(0)
	v_mul_f32_e32 v12, v14, v38
	v_fmac_f32_e32 v19, v11, v31
	v_fma_f32 v31, v42, v37, -v12
	ds_read_b32 v12, v28 offset:3240
	ds_read_b32 v34, v23
	v_fmac_f32_e32 v20, v44, v21
	v_mul_f32_e32 v21, v41, v36
	v_mul_f32_e32 v26, v42, v38
	;; [unrolled: 1-line block ×3, first 2 shown]
	v_fmac_f32_e32 v21, v13, v35
	v_fmac_f32_e32 v26, v14, v37
	s_waitcnt vmcnt(0) lgkmcnt(1)
	v_mul_f32_e32 v13, v12, v6
	v_mul_f32_e32 v37, v47, v6
	v_fma_f32 v11, v41, v35, -v11
	v_fma_f32 v13, v47, v5, -v13
	v_fmac_f32_e32 v37, v12, v5
	v_sub_f32_e32 v5, v24, v25
	v_sub_f32_e32 v6, v31, v30
	v_add_f32_e32 v5, v5, v6
	v_sub_f32_e32 v6, v15, v16
	v_sub_f32_e32 v12, v13, v11
	v_add_f32_e32 v38, v9, v15
	v_add_f32_e32 v6, v6, v12
	v_sub_f32_e32 v12, v17, v19
	v_sub_f32_e32 v14, v37, v21
	v_add_f32_e32 v38, v38, v16
	v_add_f32_e32 v12, v12, v14
	v_mov_b32_e32 v14, 2
	v_add_f32_e32 v38, v38, v11
	v_add_f32_e32 v39, v19, v21
	v_lshlrev_b32_sdwa v14, v14, v49 dst_sel:DWORD dst_unused:UNUSED_PAD src0_sel:DWORD src1_sel:BYTE_0
	v_mad_u32_u24 v29, v48, s2, 0
	v_add_f32_e32 v45, v38, v13
	v_add_f32_e32 v38, v16, v11
	v_fma_f32 v39, -0.5, v39, v10
	v_add3_u32 v35, v29, v14, v0
	v_add_f32_e32 v29, v25, v30
	v_fma_f32 v38, -0.5, v38, v9
	v_sub_f32_e32 v49, v15, v13
	v_mov_b32_e32 v41, v39
	v_fma_f32 v29, -0.5, v29, v46
	v_sub_f32_e32 v47, v17, v37
	v_mov_b32_e32 v40, v38
	v_fmac_f32_e32 v41, 0xbf737871, v49
	v_sub_f32_e32 v50, v16, v11
	v_add_f32_e32 v14, v46, v24
	v_sub_f32_e32 v32, v18, v26
	v_mov_b32_e32 v33, v29
	v_fmac_f32_e32 v40, 0x3f737871, v47
	v_sub_f32_e32 v48, v19, v21
	v_fmac_f32_e32 v41, 0xbf167918, v50
	v_add_f32_e32 v14, v14, v25
	v_fmac_f32_e32 v33, 0x3f737871, v32
	v_sub_f32_e32 v36, v20, v22
	v_fmac_f32_e32 v40, 0x3f167918, v48
	v_fmac_f32_e32 v41, 0x3e9e377a, v12
	v_add_f32_e32 v14, v14, v30
	v_fmac_f32_e32 v33, 0x3f167918, v36
	v_fmac_f32_e32 v40, 0x3e9e377a, v6
	v_mul_f32_e32 v51, 0x3f167918, v41
	v_add_f32_e32 v14, v14, v31
	v_fmac_f32_e32 v33, 0x3e9e377a, v5
	v_fmac_f32_e32 v51, 0x3f4f1bbd, v40
	v_add_f32_e32 v42, v14, v45
	v_add_f32_e32 v43, v33, v51
	s_waitcnt lgkmcnt(0)
	s_barrier
	ds_write2_b32 v35, v42, v43 offset1:10
	v_add_f32_e32 v42, v24, v31
	v_fmac_f32_e32 v46, -0.5, v42
	v_mov_b32_e32 v52, v46
	v_sub_f32_e32 v42, v25, v24
	v_sub_f32_e32 v43, v30, v31
	v_fmac_f32_e32 v52, 0xbf737871, v36
	v_fmac_f32_e32 v46, 0x3f737871, v36
	v_add_f32_e32 v42, v42, v43
	v_fmac_f32_e32 v52, 0x3f167918, v32
	v_fmac_f32_e32 v46, 0xbf167918, v32
	;; [unrolled: 1-line block ×4, first 2 shown]
	v_add_f32_e32 v42, v15, v13
	v_fmac_f32_e32 v9, -0.5, v42
	v_mov_b32_e32 v42, v9
	v_sub_f32_e32 v15, v16, v15
	v_sub_f32_e32 v11, v11, v13
	v_fmac_f32_e32 v42, 0xbf737871, v48
	v_fmac_f32_e32 v9, 0x3f737871, v48
	v_add_f32_e32 v11, v15, v11
	v_fmac_f32_e32 v42, 0x3f167918, v47
	v_fmac_f32_e32 v9, 0xbf167918, v47
	;; [unrolled: 1-line block ×4, first 2 shown]
	v_sub_f32_e32 v11, v19, v17
	v_sub_f32_e32 v13, v21, v37
	v_add_f32_e32 v11, v11, v13
	v_add_f32_e32 v13, v17, v37
	v_fma_f32 v43, -0.5, v13, v10
	v_mov_b32_e32 v44, v43
	v_fmac_f32_e32 v38, 0xbf737871, v47
	v_fmac_f32_e32 v44, 0x3f737871, v50
	;; [unrolled: 1-line block ×13, first 2 shown]
	v_mul_f32_e32 v6, 0x3f4f1bbd, v38
	v_fmac_f32_e32 v43, 0x3e9e377a, v11
	v_mul_f32_e32 v11, 0x3f737871, v44
	v_fmac_f32_e32 v29, 0x3e9e377a, v5
	v_fma_f32 v6, v39, s11, -v6
	v_fmac_f32_e32 v11, 0x3e9e377a, v42
	v_mul_f32_e32 v13, 0x3e9e377a, v9
	v_sub_f32_e32 v5, v14, v45
	v_add_f32_e32 v12, v29, v6
	v_fma_f32 v13, v43, s7, -v13
	v_add_f32_e32 v15, v52, v11
	ds_write2_b32 v35, v12, v5 offset0:40 offset1:50
	v_sub_f32_e32 v5, v33, v51
	v_sub_f32_e32 v11, v52, v11
	v_add_f32_e32 v16, v46, v13
	ds_write2_b32 v35, v5, v11 offset0:60 offset1:70
	v_sub_f32_e32 v5, v46, v13
	v_sub_f32_e32 v29, v29, v6
	ds_write2_b32 v35, v15, v16 offset0:20 offset1:30
	ds_write2_b32 v35, v5, v29 offset0:80 offset1:90
	s_waitcnt lgkmcnt(0)
	s_barrier
	ds_read_b32 v33, v23
	v_add_u32_e32 v45, 0xa00, v28
	ds_read2_b32 v[15:16], v7 offset0:44 offset1:134
	ds_read2_b32 v[11:12], v8 offset0:96 offset1:216
	;; [unrolled: 1-line block ×4, first 2 shown]
                                        ; implicit-def: $vgpr32
                                        ; implicit-def: $vgpr36
	s_and_saveexec_b64 s[2:3], vcc
	s_cbranch_execz .LBB0_15
; %bb.14:
	ds_read_b32 v29, v28 offset:1080
	ds_read_b32 v36, v28 offset:2280
	;; [unrolled: 1-line block ×3, first 2 shown]
.LBB0_15:
	s_or_b64 exec, exec, s[2:3]
	v_add_f32_e32 v47, v20, v22
	v_fma_f32 v47, -0.5, v47, v34
	v_sub_f32_e32 v24, v24, v31
	v_mov_b32_e32 v31, v47
	v_fmac_f32_e32 v31, 0xbf737871, v24
	v_sub_f32_e32 v25, v25, v30
	v_sub_f32_e32 v30, v18, v20
	;; [unrolled: 1-line block ×3, first 2 shown]
	v_fmac_f32_e32 v47, 0x3f737871, v24
	v_fmac_f32_e32 v31, 0xbf167918, v25
	v_add_f32_e32 v30, v30, v48
	v_fmac_f32_e32 v47, 0x3f167918, v25
	v_fmac_f32_e32 v31, 0x3e9e377a, v30
	;; [unrolled: 1-line block ×3, first 2 shown]
	v_add_f32_e32 v30, v18, v26
	v_add_f32_e32 v46, v34, v18
	v_fmac_f32_e32 v34, -0.5, v30
	v_mov_b32_e32 v30, v34
	v_add_f32_e32 v46, v46, v20
	v_fmac_f32_e32 v30, 0x3f737871, v25
	v_sub_f32_e32 v18, v20, v18
	v_sub_f32_e32 v20, v22, v26
	v_fmac_f32_e32 v34, 0xbf737871, v25
	v_add_f32_e32 v10, v10, v17
	v_fmac_f32_e32 v30, 0xbf167918, v24
	v_add_f32_e32 v18, v18, v20
	;; [unrolled: 2-line block ×3, first 2 shown]
	v_add_f32_e32 v46, v46, v22
	v_fmac_f32_e32 v30, 0x3e9e377a, v18
	v_fmac_f32_e32 v34, 0x3e9e377a, v18
	v_add_f32_e32 v10, v10, v21
	v_mul_f32_e32 v18, 0xbf167918, v40
	v_mul_f32_e32 v20, 0xbf737871, v42
	;; [unrolled: 1-line block ×3, first 2 shown]
	v_add_f32_e32 v46, v46, v26
	v_add_f32_e32 v10, v10, v37
	v_fmac_f32_e32 v18, 0x3f4f1bbd, v41
	v_fmac_f32_e32 v20, 0x3e9e377a, v44
	v_fma_f32 v9, v9, s6, -v22
	v_mul_f32_e32 v24, 0x3f4f1bbd, v39
	v_add_f32_e32 v17, v46, v10
	v_add_f32_e32 v19, v31, v18
	v_add_f32_e32 v21, v30, v20
	v_add_f32_e32 v22, v34, v9
	v_fma_f32 v24, v38, s10, -v24
	v_sub_f32_e32 v10, v46, v10
	v_sub_f32_e32 v18, v31, v18
	;; [unrolled: 1-line block ×4, first 2 shown]
	v_add_f32_e32 v25, v47, v24
	v_sub_f32_e32 v30, v47, v24
	s_waitcnt lgkmcnt(0)
	s_barrier
	ds_write2_b32 v35, v17, v19 offset1:10
	ds_write2_b32 v35, v21, v22 offset0:20 offset1:30
	ds_write2_b32 v35, v25, v10 offset0:40 offset1:50
	;; [unrolled: 1-line block ×4, first 2 shown]
	s_waitcnt lgkmcnt(0)
	s_barrier
	ds_read_b32 v24, v23
	ds_read2_b32 v[21:22], v7 offset0:44 offset1:134
	ds_read2_b32 v[17:18], v8 offset0:96 offset1:216
	;; [unrolled: 1-line block ×4, first 2 shown]
                                        ; implicit-def: $vgpr46
                                        ; implicit-def: $vgpr43
	s_and_saveexec_b64 s[2:3], vcc
	s_cbranch_execz .LBB0_17
; %bb.16:
	ds_read_b32 v30, v28 offset:1080
	ds_read_b32 v43, v28 offset:2280
	;; [unrolled: 1-line block ×3, first 2 shown]
.LBB0_17:
	s_or_b64 exec, exec, s[2:3]
	v_lshlrev_b32_e32 v25, 1, v27
	v_mov_b32_e32 v26, 0
	v_lshlrev_b64 v[7:8], 3, v[25:26]
	v_mov_b32_e32 v31, s9
	v_add_co_u32_e64 v7, s[2:3], s8, v7
	v_addc_co_u32_e64 v8, s[2:3], v31, v8, s[2:3]
	v_add_u32_e32 v34, 0x5a, v27
	v_add_u32_e32 v25, -10, v27
	v_cmp_gt_u32_e64 s[2:3], 10, v27
	v_cndmask_b32_e64 v59, v25, v34, s[2:3]
	v_lshlrev_b32_e32 v25, 1, v59
	v_lshlrev_b64 v[25:26], 3, v[25:26]
	v_add_u32_e32 v35, 0xb4, v27
	v_add_co_u32_e64 v25, s[2:3], s8, v25
	v_addc_co_u32_e64 v26, s[2:3], v31, v26, s[2:3]
	global_load_dwordx4 v[47:50], v[25:26], off offset:720
	v_lshrrev_b16_e32 v25, 2, v35
	v_mul_u32_u24_e32 v25, 0x147b, v25
	v_add_u32_e32 v31, 0x10e, v27
	v_lshrrev_b32_e32 v60, 17, v25
	v_mul_lo_u16_e32 v25, 0x64, v60
	v_lshrrev_b16_e32 v26, 2, v31
	v_sub_u16_e32 v61, v35, v25
	v_mul_u32_u24_e32 v26, 0x147b, v26
	v_lshlrev_b32_e32 v25, 4, v61
	v_lshrrev_b32_e32 v26, 17, v26
	global_load_dwordx4 v[38:41], v[7:8], off offset:720
	global_load_dwordx4 v[51:54], v25, s[8:9] offset:720
	v_mul_lo_u16_e32 v25, 0x64, v26
	v_sub_u16_e32 v62, v31, v25
	v_lshlrev_b32_e32 v25, 4, v62
	global_load_dwordx4 v[55:58], v25, s[8:9] offset:720
	s_waitcnt vmcnt(0) lgkmcnt(0)
	s_barrier
	v_cmp_lt_u32_e64 s[2:3], 9, v27
	s_movk_i32 s6, 0x4b0
	v_mul_f32_e32 v25, v21, v39
	v_mul_f32_e32 v26, v15, v39
	;; [unrolled: 1-line block ×4, first 2 shown]
	v_fma_f32 v25, v15, v38, -v25
	v_fmac_f32_e32 v26, v21, v38
	v_fma_f32 v38, v12, v40, -v37
	v_mul_f32_e32 v12, v22, v48
	v_mul_f32_e32 v15, v19, v50
	;; [unrolled: 1-line block ×4, first 2 shown]
	v_add_f32_e32 v45, v25, v38
	v_fma_f32 v41, v16, v47, -v12
	v_fma_f32 v44, v13, v49, -v15
	v_mul_f32_e32 v12, v17, v52
	v_mul_f32_e32 v13, v20, v54
	v_fmac_f32_e32 v39, v18, v40
	v_add_f32_e32 v18, v33, v25
	v_fmac_f32_e32 v21, v22, v47
	v_fmac_f32_e32 v37, v19, v49
	v_mul_f32_e32 v42, v14, v54
	v_mul_f32_e32 v15, v43, v56
	;; [unrolled: 1-line block ×4, first 2 shown]
	v_fmac_f32_e32 v33, -0.5, v45
	v_fma_f32 v45, v11, v51, -v12
	v_fma_f32 v47, v14, v53, -v13
	v_sub_f32_e32 v48, v26, v39
	v_mul_f32_e32 v40, v11, v52
	v_fmac_f32_e32 v42, v20, v53
	v_fma_f32 v20, v36, v55, -v15
	v_fmac_f32_e32 v19, v43, v55
	v_fma_f32 v43, v32, v57, -v16
	v_mov_b32_e32 v11, v33
	v_add_f32_e32 v13, v41, v44
	v_add_f32_e32 v15, v45, v47
	v_mul_f32_e32 v22, v32, v58
	v_add_f32_e32 v18, v18, v38
	v_add_f32_e32 v12, v5, v41
	v_fmac_f32_e32 v11, 0x3f5db3d7, v48
	v_fma_f32 v13, -0.5, v13, v5
	v_add_f32_e32 v5, v6, v45
	v_fmac_f32_e32 v6, -0.5, v15
	v_add_f32_e32 v15, v20, v43
	v_fmac_f32_e32 v40, v17, v51
	v_fmac_f32_e32 v22, v46, v57
	v_fmac_f32_e32 v33, 0xbf5db3d7, v48
	v_add_f32_e32 v17, v29, v20
	v_fmac_f32_e32 v29, -0.5, v15
	ds_write2_b32 v28, v18, v11 offset1:100
	ds_write_b32 v28, v33 offset:800
	v_mov_b32_e32 v11, 0x4b0
	v_sub_f32_e32 v15, v19, v22
	v_mov_b32_e32 v32, v29
	v_cndmask_b32_e64 v11, 0, v11, s[2:3]
	v_sub_f32_e32 v14, v21, v37
	v_mov_b32_e32 v36, v13
	v_fmac_f32_e32 v32, 0x3f5db3d7, v15
	v_fmac_f32_e32 v29, 0xbf5db3d7, v15
	v_add_u32_e32 v11, 0, v11
	v_lshlrev_b32_e32 v15, 2, v59
	v_add_f32_e32 v12, v12, v44
	v_fmac_f32_e32 v36, 0x3f5db3d7, v14
	v_add3_u32 v48, v11, v15, v0
	v_sub_f32_e32 v16, v40, v42
	v_fmac_f32_e32 v13, 0xbf5db3d7, v14
	v_mov_b32_e32 v14, v6
	ds_write2_b32 v48, v12, v36 offset1:100
	ds_write_b32 v48, v13 offset:800
	v_mad_u32_u24 v11, v60, s6, 0
	v_lshlrev_b32_e32 v12, 2, v61
	v_add_f32_e32 v46, v5, v47
	v_fmac_f32_e32 v14, 0x3f5db3d7, v16
	v_add3_u32 v49, v11, v12, v0
	v_fmac_f32_e32 v6, 0xbf5db3d7, v16
	v_add_f32_e32 v5, v17, v43
	ds_write2_b32 v49, v46, v14 offset1:100
	ds_write_b32 v49, v6 offset:800
	v_lshlrev_b32_e32 v46, 2, v62
	s_and_saveexec_b64 s[2:3], vcc
	s_cbranch_execz .LBB0_19
; %bb.18:
	v_add3_u32 v6, 0, v46, v0
	v_add_u32_e32 v11, 0x800, v6
	ds_write2_b32 v11, v5, v32 offset0:88 offset1:188
	ds_write_b32 v6, v29 offset:3200
.LBB0_19:
	s_or_b64 exec, exec, s[2:3]
	v_add_u32_e32 v6, 0x400, v28
	s_waitcnt lgkmcnt(0)
	s_barrier
	ds_read2_b32 v[13:14], v6 offset0:44 offset1:134
	v_add_u32_e32 v6, 0x600, v28
	ds_read_b32 v36, v23
	ds_read2_b32 v[17:18], v6 offset0:96 offset1:216
	ds_read2_b32 v[11:12], v28 offset0:90 offset1:180
	v_add_u32_e32 v6, 0xa00, v28
	ds_read2_b32 v[15:16], v6 offset0:50 offset1:140
	s_and_saveexec_b64 s[2:3], vcc
	s_cbranch_execz .LBB0_21
; %bb.20:
	ds_read_b32 v5, v28 offset:1080
	ds_read_b32 v32, v28 offset:2280
	;; [unrolled: 1-line block ×3, first 2 shown]
.LBB0_21:
	s_or_b64 exec, exec, s[2:3]
	v_add_f32_e32 v6, v24, v26
	v_add_f32_e32 v50, v6, v39
	;; [unrolled: 1-line block ×3, first 2 shown]
	v_fmac_f32_e32 v24, -0.5, v6
	v_sub_f32_e32 v6, v25, v38
	v_mov_b32_e32 v25, v24
	v_fmac_f32_e32 v25, 0xbf5db3d7, v6
	v_fmac_f32_e32 v24, 0x3f5db3d7, v6
	v_add_f32_e32 v6, v9, v21
	v_add_f32_e32 v26, v6, v37
	;; [unrolled: 1-line block ×3, first 2 shown]
	v_fma_f32 v9, -0.5, v6, v9
	v_sub_f32_e32 v6, v41, v44
	v_mov_b32_e32 v21, v9
	v_fmac_f32_e32 v21, 0xbf5db3d7, v6
	v_fmac_f32_e32 v9, 0x3f5db3d7, v6
	v_add_f32_e32 v6, v10, v40
	v_add_f32_e32 v37, v6, v42
	;; [unrolled: 1-line block ×3, first 2 shown]
	v_fmac_f32_e32 v10, -0.5, v6
	v_sub_f32_e32 v6, v45, v47
	v_mov_b32_e32 v38, v10
	v_fmac_f32_e32 v38, 0xbf5db3d7, v6
	v_fmac_f32_e32 v10, 0x3f5db3d7, v6
	v_add_f32_e32 v6, v30, v19
	v_add_f32_e32 v19, v19, v22
	v_fmac_f32_e32 v30, -0.5, v19
	v_sub_f32_e32 v19, v20, v43
	v_mov_b32_e32 v33, v30
	v_add_f32_e32 v6, v6, v22
	v_fmac_f32_e32 v33, 0xbf5db3d7, v19
	v_fmac_f32_e32 v30, 0x3f5db3d7, v19
	s_waitcnt lgkmcnt(0)
	s_barrier
	ds_write2_b32 v28, v50, v25 offset1:100
	ds_write_b32 v28, v24 offset:800
	ds_write2_b32 v48, v26, v21 offset1:100
	ds_write_b32 v48, v9 offset:800
	;; [unrolled: 2-line block ×3, first 2 shown]
	s_and_saveexec_b64 s[2:3], vcc
	s_cbranch_execz .LBB0_23
; %bb.22:
	v_add3_u32 v0, 0, v46, v0
	v_add_u32_e32 v9, 0x800, v0
	ds_write2_b32 v9, v6, v33 offset0:88 offset1:188
	ds_write_b32 v0, v30 offset:3200
.LBB0_23:
	s_or_b64 exec, exec, s[2:3]
	v_add_u32_e32 v9, 0x400, v28
	s_waitcnt lgkmcnt(0)
	s_barrier
	ds_read2_b32 v[21:22], v9 offset0:44 offset1:134
	v_add_u32_e32 v9, 0x600, v28
	ds_read_b32 v0, v23
	ds_read2_b32 v[25:26], v9 offset0:96 offset1:216
	ds_read2_b32 v[19:20], v28 offset0:90 offset1:180
	v_add_u32_e32 v9, 0xa00, v28
	ds_read2_b32 v[23:24], v9 offset0:50 offset1:140
	s_and_saveexec_b64 s[2:3], vcc
	s_cbranch_execz .LBB0_25
; %bb.24:
	ds_read_b32 v6, v28 offset:1080
	ds_read_b32 v33, v28 offset:2280
	;; [unrolled: 1-line block ×3, first 2 shown]
.LBB0_25:
	s_or_b64 exec, exec, s[2:3]
	s_and_saveexec_b64 s[2:3], s[0:1]
	s_cbranch_execz .LBB0_28
; %bb.26:
	v_lshlrev_b32_e32 v9, 1, v35
	v_mov_b32_e32 v10, 0
	v_lshlrev_b64 v[37:38], 3, v[9:10]
	v_mov_b32_e32 v28, s9
	v_add_co_u32_e64 v45, s[0:1], s8, v37
	v_addc_co_u32_e64 v46, s[0:1], v28, v38, s[0:1]
	v_lshlrev_b32_e32 v9, 1, v34
	global_load_dwordx4 v[37:40], v[45:46], off offset:2320
	global_load_dwordx4 v[41:44], v[7:8], off offset:2320
	v_lshlrev_b64 v[7:8], 3, v[9:10]
	s_mov_b32 s2, 0x1b4e81b5
	v_add_co_u32_e64 v7, s[0:1], s8, v7
	v_addc_co_u32_e64 v8, s[0:1], v28, v8, s[0:1]
	global_load_dwordx4 v[45:48], v[7:8], off offset:2320
	v_mul_lo_u32 v7, s5, v3
	v_mul_lo_u32 v8, s4, v4
	v_mad_u64_u32 v[3:4], s[0:1], s4, v3, 0
	s_movk_i32 s4, 0x384
	s_movk_i32 s3, 0x12c
	v_add3_u32 v4, v4, v8, v7
	v_lshlrev_b64 v[3:4], 3, v[3:4]
	v_add_co_u32_e64 v3, s[0:1], s14, v3
	s_waitcnt vmcnt(2) lgkmcnt(2)
	v_mul_f32_e32 v7, v25, v38
	s_waitcnt lgkmcnt(0)
	v_mul_f32_e32 v8, v24, v40
	v_mul_f32_e32 v9, v17, v38
	;; [unrolled: 1-line block ×3, first 2 shown]
	s_waitcnt vmcnt(1)
	v_mul_f32_e32 v38, v13, v42
	v_mul_f32_e32 v40, v18, v44
	;; [unrolled: 1-line block ×3, first 2 shown]
	v_fma_f32 v7, v17, v37, -v7
	s_waitcnt vmcnt(0)
	v_mul_f32_e32 v17, v23, v48
	v_fmac_f32_e32 v38, v21, v41
	v_fmac_f32_e32 v40, v26, v43
	v_fma_f32 v16, v16, v39, -v8
	v_fmac_f32_e32 v9, v25, v37
	v_fmac_f32_e32 v28, v24, v39
	v_mul_f32_e32 v25, v15, v48
	v_fma_f32 v39, v18, v43, -v35
	v_fma_f32 v35, v15, v47, -v17
	v_add_f32_e32 v15, v38, v40
	v_add_f32_e32 v17, v0, v38
	v_fma_f32 v15, -0.5, v15, v0
	v_mul_hi_u32 v0, v27, s2
	v_mul_f32_e32 v34, v21, v42
	v_mul_f32_e32 v24, v14, v46
	v_mul_f32_e32 v8, v22, v46
	v_fma_f32 v37, v13, v41, -v34
	v_add_f32_e32 v13, v9, v28
	v_add_f32_e32 v18, v20, v9
	;; [unrolled: 1-line block ×3, first 2 shown]
	v_fmac_f32_e32 v24, v22, v45
	v_fmac_f32_e32 v25, v23, v47
	v_sub_f32_e32 v26, v7, v16
	v_add_f32_e32 v34, v12, v7
	v_fma_f32 v14, v14, v45, -v8
	v_fma_f32 v8, -0.5, v13, v20
	v_add_f32_e32 v13, v18, v28
	v_fma_f32 v7, -0.5, v21, v12
	v_add_f32_e32 v18, v24, v25
	v_sub_f32_e32 v9, v9, v28
	v_add_f32_e32 v22, v37, v39
	v_add_f32_e32 v23, v19, v24
	v_sub_f32_e32 v42, v24, v25
	v_add_f32_e32 v24, v11, v14
	v_mov_b32_e32 v20, v7
	v_fma_f32 v19, -0.5, v18, v19
	v_lshrrev_b32_e32 v0, 5, v0
	v_add_f32_e32 v12, v34, v16
	v_sub_f32_e32 v16, v14, v35
	v_add_f32_e32 v28, v14, v35
	v_fma_f32 v14, -0.5, v22, v36
	v_fmac_f32_e32 v7, 0x3f5db3d7, v9
	v_add_f32_e32 v22, v24, v35
	v_fmac_f32_e32 v20, 0xbf5db3d7, v9
	v_mov_b32_e32 v35, v19
	v_add_f32_e32 v9, v36, v37
	v_mul_u32_u24_e32 v0, 0x12c, v0
	v_fmac_f32_e32 v19, 0xbf5db3d7, v16
	v_fmac_f32_e32 v35, 0x3f5db3d7, v16
	v_add_f32_e32 v16, v9, v39
	v_sub_u32_e32 v9, v27, v0
	v_mov_b32_e32 v0, s15
	v_addc_co_u32_e64 v4, s[0:1], v0, v4, s[0:1]
	v_lshlrev_b64 v[0:1], 3, v[1:2]
	v_sub_f32_e32 v41, v37, v39
	v_add_co_u32_e64 v2, s[0:1], v3, v0
	v_addc_co_u32_e64 v3, s[0:1], v4, v1, s[0:1]
	v_lshlrev_b32_e32 v0, 3, v9
	v_add_co_u32_e64 v0, s[0:1], v2, v0
	v_add_u32_e32 v4, 0x5a, v27
	v_addc_co_u32_e64 v1, s[0:1], 0, v3, s[0:1]
	v_mul_hi_u32 v9, v4, s2
	v_sub_f32_e32 v38, v38, v40
	v_add_f32_e32 v17, v17, v40
	s_movk_i32 s0, 0x1000
	v_add_f32_e32 v23, v23, v25
	v_mov_b32_e32 v25, v15
	v_fmac_f32_e32 v15, 0xbf5db3d7, v41
	v_mov_b32_e32 v24, v14
	v_fmac_f32_e32 v14, 0x3f5db3d7, v38
	global_store_dwordx2 v[0:1], v[16:17], off
	global_store_dwordx2 v[0:1], v[14:15], off offset:2400
	v_add_co_u32_e64 v0, s[0:1], s0, v0
	v_fmac_f32_e32 v25, 0x3f5db3d7, v41
	v_fmac_f32_e32 v24, 0xbf5db3d7, v38
	v_addc_co_u32_e64 v1, s[0:1], 0, v1, s[0:1]
	global_store_dwordx2 v[0:1], v[24:25], off offset:704
	v_lshrrev_b32_e32 v0, 5, v9
	v_mul_u32_u24_e32 v1, 0x12c, v0
	v_sub_u32_e32 v1, v4, v1
	v_mad_u32_u24 v9, v0, s4, v1
	v_lshlrev_b64 v[0:1], 3, v[9:10]
	v_fma_f32 v18, -0.5, v28, v11
	v_add_co_u32_e64 v0, s[0:1], v2, v0
	v_addc_co_u32_e64 v1, s[0:1], v3, v1, s[0:1]
	global_store_dwordx2 v[0:1], v[22:23], off
	v_add_u32_e32 v0, 0x12c, v9
	v_mov_b32_e32 v1, v10
	v_lshlrev_b64 v[0:1], 3, v[0:1]
	v_mov_b32_e32 v34, v18
	v_add_co_u32_e64 v0, s[0:1], v2, v0
	v_fmac_f32_e32 v18, 0x3f5db3d7, v42
	v_addc_co_u32_e64 v1, s[0:1], v3, v1, s[0:1]
	v_add_u32_e32 v9, 0x258, v9
	v_add_u32_e32 v4, 0xb4, v27
	global_store_dwordx2 v[0:1], v[18:19], off
	v_lshlrev_b64 v[0:1], 3, v[9:10]
	v_mul_hi_u32 v9, v4, s2
	v_add_co_u32_e64 v0, s[0:1], v2, v0
	v_fmac_f32_e32 v34, 0xbf5db3d7, v42
	v_addc_co_u32_e64 v1, s[0:1], v3, v1, s[0:1]
	global_store_dwordx2 v[0:1], v[34:35], off
	v_lshrrev_b32_e32 v0, 5, v9
	v_mul_u32_u24_e32 v1, 0x12c, v0
	v_sub_u32_e32 v1, v4, v1
	v_mad_u32_u24 v9, v0, s4, v1
	v_lshlrev_b64 v[0:1], 3, v[9:10]
	v_mov_b32_e32 v21, v8
	v_add_co_u32_e64 v0, s[0:1], v2, v0
	v_addc_co_u32_e64 v1, s[0:1], v3, v1, s[0:1]
	global_store_dwordx2 v[0:1], v[12:13], off
	v_add_u32_e32 v0, 0x12c, v9
	v_mov_b32_e32 v1, v10
	v_lshlrev_b64 v[0:1], 3, v[0:1]
	v_fmac_f32_e32 v8, 0xbf5db3d7, v26
	v_add_co_u32_e64 v0, s[0:1], v2, v0
	v_addc_co_u32_e64 v1, s[0:1], v3, v1, s[0:1]
	v_add_u32_e32 v9, 0x258, v9
	global_store_dwordx2 v[0:1], v[7:8], off
	v_lshlrev_b64 v[0:1], 3, v[9:10]
	v_fmac_f32_e32 v21, 0x3f5db3d7, v26
	v_add_co_u32_e64 v0, s[0:1], v2, v0
	v_addc_co_u32_e64 v1, s[0:1], v3, v1, s[0:1]
	global_store_dwordx2 v[0:1], v[20:21], off
	v_add_u32_e32 v0, 0x10e, v27
	v_cmp_gt_u32_e64 s[0:1], s3, v0
	s_and_b64 exec, exec, s[0:1]
	s_cbranch_execz .LBB0_28
; %bb.27:
	v_subrev_u32_e32 v1, 30, v27
	v_cndmask_b32_e32 v1, v1, v31, vcc
	v_lshlrev_b32_e32 v9, 1, v1
	v_lshlrev_b64 v[7:8], 3, v[9:10]
	v_mov_b32_e32 v1, s9
	v_add_co_u32_e32 v7, vcc, s8, v7
	v_addc_co_u32_e32 v8, vcc, v1, v8, vcc
	global_load_dwordx4 v[11:14], v[7:8], off offset:2320
	v_mov_b32_e32 v1, v10
	v_lshlrev_b64 v[0:1], 3, v[0:1]
	v_add_u32_e32 v9, 0x23a, v27
	v_add_co_u32_e32 v0, vcc, v2, v0
	v_lshlrev_b64 v[7:8], 3, v[9:10]
	v_addc_co_u32_e32 v1, vcc, v3, v1, vcc
	v_add_u32_e32 v9, 0x366, v27
	v_lshlrev_b64 v[9:10], 3, v[9:10]
	v_add_co_u32_e32 v7, vcc, v2, v7
	v_addc_co_u32_e32 v8, vcc, v3, v8, vcc
	v_add_co_u32_e32 v2, vcc, v2, v9
	v_addc_co_u32_e32 v3, vcc, v3, v10, vcc
	s_waitcnt vmcnt(0)
	v_mul_f32_e32 v4, v33, v12
	v_mul_f32_e32 v9, v32, v12
	;; [unrolled: 1-line block ×4, first 2 shown]
	v_fma_f32 v4, v32, v11, -v4
	v_fmac_f32_e32 v9, v33, v11
	v_fma_f32 v10, v29, v13, -v10
	v_fmac_f32_e32 v12, v30, v13
	v_add_f32_e32 v13, v4, v10
	v_add_f32_e32 v16, v9, v12
	;; [unrolled: 1-line block ×4, first 2 shown]
	v_fmac_f32_e32 v5, -0.5, v13
	v_fmac_f32_e32 v6, -0.5, v16
	v_sub_f32_e32 v14, v9, v12
	v_sub_f32_e32 v4, v4, v10
	v_add_f32_e32 v9, v11, v10
	v_add_f32_e32 v10, v15, v12
	v_mov_b32_e32 v11, v5
	v_mov_b32_e32 v12, v6
	v_fmac_f32_e32 v11, 0x3f5db3d7, v14
	v_fmac_f32_e32 v12, 0xbf5db3d7, v4
	;; [unrolled: 1-line block ×4, first 2 shown]
	global_store_dwordx2 v[0:1], v[9:10], off
	global_store_dwordx2 v[7:8], v[11:12], off
	;; [unrolled: 1-line block ×3, first 2 shown]
.LBB0_28:
	s_endpgm
	.section	.rodata,"a",@progbits
	.p2align	6, 0x0
	.amdhsa_kernel fft_rtc_fwd_len900_factors_10_10_3_3_wgs_180_tpt_90_halfLds_sp_op_CI_CI_unitstride_sbrr_dirReg
		.amdhsa_group_segment_fixed_size 0
		.amdhsa_private_segment_fixed_size 0
		.amdhsa_kernarg_size 104
		.amdhsa_user_sgpr_count 6
		.amdhsa_user_sgpr_private_segment_buffer 1
		.amdhsa_user_sgpr_dispatch_ptr 0
		.amdhsa_user_sgpr_queue_ptr 0
		.amdhsa_user_sgpr_kernarg_segment_ptr 1
		.amdhsa_user_sgpr_dispatch_id 0
		.amdhsa_user_sgpr_flat_scratch_init 0
		.amdhsa_user_sgpr_private_segment_size 0
		.amdhsa_uses_dynamic_stack 0
		.amdhsa_system_sgpr_private_segment_wavefront_offset 0
		.amdhsa_system_sgpr_workgroup_id_x 1
		.amdhsa_system_sgpr_workgroup_id_y 0
		.amdhsa_system_sgpr_workgroup_id_z 0
		.amdhsa_system_sgpr_workgroup_info 0
		.amdhsa_system_vgpr_workitem_id 0
		.amdhsa_next_free_vgpr 63
		.amdhsa_next_free_sgpr 28
		.amdhsa_reserve_vcc 1
		.amdhsa_reserve_flat_scratch 0
		.amdhsa_float_round_mode_32 0
		.amdhsa_float_round_mode_16_64 0
		.amdhsa_float_denorm_mode_32 3
		.amdhsa_float_denorm_mode_16_64 3
		.amdhsa_dx10_clamp 1
		.amdhsa_ieee_mode 1
		.amdhsa_fp16_overflow 0
		.amdhsa_exception_fp_ieee_invalid_op 0
		.amdhsa_exception_fp_denorm_src 0
		.amdhsa_exception_fp_ieee_div_zero 0
		.amdhsa_exception_fp_ieee_overflow 0
		.amdhsa_exception_fp_ieee_underflow 0
		.amdhsa_exception_fp_ieee_inexact 0
		.amdhsa_exception_int_div_zero 0
	.end_amdhsa_kernel
	.text
.Lfunc_end0:
	.size	fft_rtc_fwd_len900_factors_10_10_3_3_wgs_180_tpt_90_halfLds_sp_op_CI_CI_unitstride_sbrr_dirReg, .Lfunc_end0-fft_rtc_fwd_len900_factors_10_10_3_3_wgs_180_tpt_90_halfLds_sp_op_CI_CI_unitstride_sbrr_dirReg
                                        ; -- End function
	.section	.AMDGPU.csdata,"",@progbits
; Kernel info:
; codeLenInByte = 6540
; NumSgprs: 32
; NumVgprs: 63
; ScratchSize: 0
; MemoryBound: 0
; FloatMode: 240
; IeeeMode: 1
; LDSByteSize: 0 bytes/workgroup (compile time only)
; SGPRBlocks: 3
; VGPRBlocks: 15
; NumSGPRsForWavesPerEU: 32
; NumVGPRsForWavesPerEU: 63
; Occupancy: 4
; WaveLimiterHint : 1
; COMPUTE_PGM_RSRC2:SCRATCH_EN: 0
; COMPUTE_PGM_RSRC2:USER_SGPR: 6
; COMPUTE_PGM_RSRC2:TRAP_HANDLER: 0
; COMPUTE_PGM_RSRC2:TGID_X_EN: 1
; COMPUTE_PGM_RSRC2:TGID_Y_EN: 0
; COMPUTE_PGM_RSRC2:TGID_Z_EN: 0
; COMPUTE_PGM_RSRC2:TIDIG_COMP_CNT: 0
	.type	__hip_cuid_2f50a482e0854064,@object ; @__hip_cuid_2f50a482e0854064
	.section	.bss,"aw",@nobits
	.globl	__hip_cuid_2f50a482e0854064
__hip_cuid_2f50a482e0854064:
	.byte	0                               ; 0x0
	.size	__hip_cuid_2f50a482e0854064, 1

	.ident	"AMD clang version 19.0.0git (https://github.com/RadeonOpenCompute/llvm-project roc-6.4.0 25133 c7fe45cf4b819c5991fe208aaa96edf142730f1d)"
	.section	".note.GNU-stack","",@progbits
	.addrsig
	.addrsig_sym __hip_cuid_2f50a482e0854064
	.amdgpu_metadata
---
amdhsa.kernels:
  - .args:
      - .actual_access:  read_only
        .address_space:  global
        .offset:         0
        .size:           8
        .value_kind:     global_buffer
      - .offset:         8
        .size:           8
        .value_kind:     by_value
      - .actual_access:  read_only
        .address_space:  global
        .offset:         16
        .size:           8
        .value_kind:     global_buffer
      - .actual_access:  read_only
        .address_space:  global
        .offset:         24
        .size:           8
        .value_kind:     global_buffer
      - .actual_access:  read_only
        .address_space:  global
        .offset:         32
        .size:           8
        .value_kind:     global_buffer
      - .offset:         40
        .size:           8
        .value_kind:     by_value
      - .actual_access:  read_only
        .address_space:  global
        .offset:         48
        .size:           8
        .value_kind:     global_buffer
      - .actual_access:  read_only
        .address_space:  global
        .offset:         56
        .size:           8
        .value_kind:     global_buffer
      - .offset:         64
        .size:           4
        .value_kind:     by_value
      - .actual_access:  read_only
        .address_space:  global
        .offset:         72
        .size:           8
        .value_kind:     global_buffer
      - .actual_access:  read_only
        .address_space:  global
        .offset:         80
        .size:           8
        .value_kind:     global_buffer
      - .actual_access:  read_only
        .address_space:  global
        .offset:         88
        .size:           8
        .value_kind:     global_buffer
      - .actual_access:  write_only
        .address_space:  global
        .offset:         96
        .size:           8
        .value_kind:     global_buffer
    .group_segment_fixed_size: 0
    .kernarg_segment_align: 8
    .kernarg_segment_size: 104
    .language:       OpenCL C
    .language_version:
      - 2
      - 0
    .max_flat_workgroup_size: 180
    .name:           fft_rtc_fwd_len900_factors_10_10_3_3_wgs_180_tpt_90_halfLds_sp_op_CI_CI_unitstride_sbrr_dirReg
    .private_segment_fixed_size: 0
    .sgpr_count:     32
    .sgpr_spill_count: 0
    .symbol:         fft_rtc_fwd_len900_factors_10_10_3_3_wgs_180_tpt_90_halfLds_sp_op_CI_CI_unitstride_sbrr_dirReg.kd
    .uniform_work_group_size: 1
    .uses_dynamic_stack: false
    .vgpr_count:     63
    .vgpr_spill_count: 0
    .wavefront_size: 64
amdhsa.target:   amdgcn-amd-amdhsa--gfx906
amdhsa.version:
  - 1
  - 2
...

	.end_amdgpu_metadata
